;; amdgpu-corpus repo=ROCm/rocFFT kind=compiled arch=gfx906 opt=O3
	.text
	.amdgcn_target "amdgcn-amd-amdhsa--gfx906"
	.amdhsa_code_object_version 6
	.protected	fft_rtc_fwd_len80_factors_5_2_8_wgs_60_tpt_10_halfLds_sp_op_CI_CI_unitstride_sbrr_R2C_dirReg ; -- Begin function fft_rtc_fwd_len80_factors_5_2_8_wgs_60_tpt_10_halfLds_sp_op_CI_CI_unitstride_sbrr_R2C_dirReg
	.globl	fft_rtc_fwd_len80_factors_5_2_8_wgs_60_tpt_10_halfLds_sp_op_CI_CI_unitstride_sbrr_R2C_dirReg
	.p2align	8
	.type	fft_rtc_fwd_len80_factors_5_2_8_wgs_60_tpt_10_halfLds_sp_op_CI_CI_unitstride_sbrr_R2C_dirReg,@function
fft_rtc_fwd_len80_factors_5_2_8_wgs_60_tpt_10_halfLds_sp_op_CI_CI_unitstride_sbrr_R2C_dirReg: ; @fft_rtc_fwd_len80_factors_5_2_8_wgs_60_tpt_10_halfLds_sp_op_CI_CI_unitstride_sbrr_R2C_dirReg
; %bb.0:
	s_load_dwordx4 s[8:11], s[4:5], 0x58
	s_load_dwordx4 s[12:15], s[4:5], 0x0
	;; [unrolled: 1-line block ×3, first 2 shown]
	v_mul_u32_u24_e32 v1, 0x199a, v0
	v_lshrrev_b32_e32 v1, 16, v1
	v_mad_u64_u32 v[3:4], s[0:1], s6, 6, v[1:2]
	v_mov_b32_e32 v5, 0
	v_mov_b32_e32 v1, 0
	;; [unrolled: 1-line block ×3, first 2 shown]
	s_waitcnt lgkmcnt(0)
	v_cmp_lt_u64_e64 s[0:1], s[14:15], 2
	v_mov_b32_e32 v2, 0
	v_mov_b32_e32 v17, v2
	;; [unrolled: 1-line block ×3, first 2 shown]
	s_and_b64 vcc, exec, s[0:1]
	v_mov_b32_e32 v16, v1
	v_mov_b32_e32 v18, v3
	s_cbranch_vccnz .LBB0_8
; %bb.1:
	s_load_dwordx2 s[0:1], s[4:5], 0x10
	s_add_u32 s2, s18, 8
	s_addc_u32 s3, s19, 0
	s_add_u32 s6, s16, 8
	v_mov_b32_e32 v1, 0
	s_addc_u32 s7, s17, 0
	v_mov_b32_e32 v2, 0
	s_waitcnt lgkmcnt(0)
	s_add_u32 s20, s0, 8
	v_mov_b32_e32 v17, v2
	v_mov_b32_e32 v8, v4
	s_addc_u32 s21, s1, 0
	s_mov_b64 s[22:23], 1
	v_mov_b32_e32 v16, v1
	v_mov_b32_e32 v7, v3
.LBB0_2:                                ; =>This Inner Loop Header: Depth=1
	s_load_dwordx2 s[24:25], s[20:21], 0x0
                                        ; implicit-def: $vgpr18_vgpr19
	s_waitcnt lgkmcnt(0)
	v_or_b32_e32 v6, s25, v8
	v_cmp_ne_u64_e32 vcc, 0, v[5:6]
	s_and_saveexec_b64 s[0:1], vcc
	s_xor_b64 s[26:27], exec, s[0:1]
	s_cbranch_execz .LBB0_4
; %bb.3:                                ;   in Loop: Header=BB0_2 Depth=1
	v_cvt_f32_u32_e32 v4, s24
	v_cvt_f32_u32_e32 v6, s25
	s_sub_u32 s0, 0, s24
	s_subb_u32 s1, 0, s25
	v_mac_f32_e32 v4, 0x4f800000, v6
	v_rcp_f32_e32 v4, v4
	v_mul_f32_e32 v4, 0x5f7ffffc, v4
	v_mul_f32_e32 v6, 0x2f800000, v4
	v_trunc_f32_e32 v6, v6
	v_mac_f32_e32 v4, 0xcf800000, v6
	v_cvt_u32_f32_e32 v6, v6
	v_cvt_u32_f32_e32 v4, v4
	v_mul_lo_u32 v9, s0, v6
	v_mul_hi_u32 v10, s0, v4
	v_mul_lo_u32 v12, s1, v4
	v_mul_lo_u32 v11, s0, v4
	v_add_u32_e32 v9, v10, v9
	v_add_u32_e32 v9, v9, v12
	v_mul_hi_u32 v10, v4, v11
	v_mul_lo_u32 v12, v4, v9
	v_mul_hi_u32 v14, v4, v9
	v_mul_hi_u32 v13, v6, v11
	v_mul_lo_u32 v11, v6, v11
	v_mul_hi_u32 v15, v6, v9
	v_add_co_u32_e32 v10, vcc, v10, v12
	v_addc_co_u32_e32 v12, vcc, 0, v14, vcc
	v_mul_lo_u32 v9, v6, v9
	v_add_co_u32_e32 v10, vcc, v10, v11
	v_addc_co_u32_e32 v10, vcc, v12, v13, vcc
	v_addc_co_u32_e32 v11, vcc, 0, v15, vcc
	v_add_co_u32_e32 v9, vcc, v10, v9
	v_addc_co_u32_e32 v10, vcc, 0, v11, vcc
	v_add_co_u32_e32 v4, vcc, v4, v9
	v_addc_co_u32_e32 v6, vcc, v6, v10, vcc
	v_mul_lo_u32 v9, s0, v6
	v_mul_hi_u32 v10, s0, v4
	v_mul_lo_u32 v11, s1, v4
	v_mul_lo_u32 v12, s0, v4
	v_add_u32_e32 v9, v10, v9
	v_add_u32_e32 v9, v9, v11
	v_mul_lo_u32 v13, v4, v9
	v_mul_hi_u32 v14, v4, v12
	v_mul_hi_u32 v15, v4, v9
	;; [unrolled: 1-line block ×3, first 2 shown]
	v_mul_lo_u32 v12, v6, v12
	v_mul_hi_u32 v10, v6, v9
	v_add_co_u32_e32 v13, vcc, v14, v13
	v_addc_co_u32_e32 v14, vcc, 0, v15, vcc
	v_mul_lo_u32 v9, v6, v9
	v_add_co_u32_e32 v12, vcc, v13, v12
	v_addc_co_u32_e32 v11, vcc, v14, v11, vcc
	v_addc_co_u32_e32 v10, vcc, 0, v10, vcc
	v_add_co_u32_e32 v9, vcc, v11, v9
	v_addc_co_u32_e32 v10, vcc, 0, v10, vcc
	v_add_co_u32_e32 v4, vcc, v4, v9
	v_addc_co_u32_e32 v6, vcc, v6, v10, vcc
	v_mad_u64_u32 v[9:10], s[0:1], v7, v6, 0
	v_mul_hi_u32 v11, v7, v4
	v_add_co_u32_e32 v13, vcc, v11, v9
	v_addc_co_u32_e32 v14, vcc, 0, v10, vcc
	v_mad_u64_u32 v[9:10], s[0:1], v8, v4, 0
	v_mad_u64_u32 v[11:12], s[0:1], v8, v6, 0
	v_add_co_u32_e32 v4, vcc, v13, v9
	v_addc_co_u32_e32 v4, vcc, v14, v10, vcc
	v_addc_co_u32_e32 v6, vcc, 0, v12, vcc
	v_add_co_u32_e32 v4, vcc, v4, v11
	v_addc_co_u32_e32 v6, vcc, 0, v6, vcc
	v_mul_lo_u32 v11, s25, v4
	v_mul_lo_u32 v12, s24, v6
	v_mad_u64_u32 v[9:10], s[0:1], s24, v4, 0
	v_add3_u32 v10, v10, v12, v11
	v_sub_u32_e32 v11, v8, v10
	v_mov_b32_e32 v12, s25
	v_sub_co_u32_e32 v9, vcc, v7, v9
	v_subb_co_u32_e64 v11, s[0:1], v11, v12, vcc
	v_subrev_co_u32_e64 v12, s[0:1], s24, v9
	v_subbrev_co_u32_e64 v11, s[0:1], 0, v11, s[0:1]
	v_cmp_le_u32_e64 s[0:1], s25, v11
	v_cndmask_b32_e64 v13, 0, -1, s[0:1]
	v_cmp_le_u32_e64 s[0:1], s24, v12
	v_cndmask_b32_e64 v12, 0, -1, s[0:1]
	v_cmp_eq_u32_e64 s[0:1], s25, v11
	v_cndmask_b32_e64 v11, v13, v12, s[0:1]
	v_add_co_u32_e64 v12, s[0:1], 2, v4
	v_addc_co_u32_e64 v13, s[0:1], 0, v6, s[0:1]
	v_add_co_u32_e64 v14, s[0:1], 1, v4
	v_addc_co_u32_e64 v15, s[0:1], 0, v6, s[0:1]
	v_subb_co_u32_e32 v10, vcc, v8, v10, vcc
	v_cmp_ne_u32_e64 s[0:1], 0, v11
	v_cmp_le_u32_e32 vcc, s25, v10
	v_cndmask_b32_e64 v11, v15, v13, s[0:1]
	v_cndmask_b32_e64 v13, 0, -1, vcc
	v_cmp_le_u32_e32 vcc, s24, v9
	v_cndmask_b32_e64 v9, 0, -1, vcc
	v_cmp_eq_u32_e32 vcc, s25, v10
	v_cndmask_b32_e32 v9, v13, v9, vcc
	v_cmp_ne_u32_e32 vcc, 0, v9
	v_cndmask_b32_e32 v19, v6, v11, vcc
	v_cndmask_b32_e64 v6, v14, v12, s[0:1]
	v_cndmask_b32_e32 v18, v4, v6, vcc
.LBB0_4:                                ;   in Loop: Header=BB0_2 Depth=1
	s_andn2_saveexec_b64 s[0:1], s[26:27]
	s_cbranch_execz .LBB0_6
; %bb.5:                                ;   in Loop: Header=BB0_2 Depth=1
	v_cvt_f32_u32_e32 v4, s24
	s_sub_i32 s26, 0, s24
	v_mov_b32_e32 v19, v5
	v_rcp_iflag_f32_e32 v4, v4
	v_mul_f32_e32 v4, 0x4f7ffffe, v4
	v_cvt_u32_f32_e32 v4, v4
	v_mul_lo_u32 v6, s26, v4
	v_mul_hi_u32 v6, v4, v6
	v_add_u32_e32 v4, v4, v6
	v_mul_hi_u32 v4, v7, v4
	v_mul_lo_u32 v6, v4, s24
	v_add_u32_e32 v9, 1, v4
	v_sub_u32_e32 v6, v7, v6
	v_subrev_u32_e32 v10, s24, v6
	v_cmp_le_u32_e32 vcc, s24, v6
	v_cndmask_b32_e32 v6, v6, v10, vcc
	v_cndmask_b32_e32 v4, v4, v9, vcc
	v_add_u32_e32 v9, 1, v4
	v_cmp_le_u32_e32 vcc, s24, v6
	v_cndmask_b32_e32 v18, v4, v9, vcc
.LBB0_6:                                ;   in Loop: Header=BB0_2 Depth=1
	s_or_b64 exec, exec, s[0:1]
	v_mul_lo_u32 v4, v19, s24
	v_mul_lo_u32 v6, v18, s25
	v_mad_u64_u32 v[9:10], s[0:1], v18, s24, 0
	s_load_dwordx2 s[0:1], s[6:7], 0x0
	s_load_dwordx2 s[24:25], s[2:3], 0x0
	v_add3_u32 v4, v10, v6, v4
	v_sub_co_u32_e32 v6, vcc, v7, v9
	v_subb_co_u32_e32 v4, vcc, v8, v4, vcc
	s_waitcnt lgkmcnt(0)
	v_mul_lo_u32 v7, s0, v4
	v_mul_lo_u32 v8, s1, v6
	v_mad_u64_u32 v[1:2], s[0:1], s0, v6, v[1:2]
	s_add_u32 s22, s22, 1
	s_addc_u32 s23, s23, 0
	s_add_u32 s2, s2, 8
	v_mul_lo_u32 v4, s24, v4
	v_mul_lo_u32 v9, s25, v6
	v_mad_u64_u32 v[16:17], s[0:1], s24, v6, v[16:17]
	v_add3_u32 v2, v8, v2, v7
	s_addc_u32 s3, s3, 0
	v_mov_b32_e32 v6, s14
	s_add_u32 s6, s6, 8
	v_mov_b32_e32 v7, s15
	s_addc_u32 s7, s7, 0
	v_cmp_ge_u64_e32 vcc, s[22:23], v[6:7]
	s_add_u32 s20, s20, 8
	v_add3_u32 v17, v9, v17, v4
	s_addc_u32 s21, s21, 0
	s_cbranch_vccnz .LBB0_8
; %bb.7:                                ;   in Loop: Header=BB0_2 Depth=1
	v_mov_b32_e32 v7, v18
	v_mov_b32_e32 v8, v19
	s_branch .LBB0_2
.LBB0_8:
	s_mov_b32 s0, 0xaaaaaaab
	v_mul_hi_u32 v4, v3, s0
	s_load_dwordx2 s[0:1], s[4:5], 0x28
	s_lshl_b64 s[6:7], s[14:15], 3
	s_add_u32 s2, s18, s6
	v_lshrrev_b32_e32 v4, 2, v4
	v_mul_lo_u32 v4, v4, 6
	s_waitcnt lgkmcnt(0)
	v_cmp_gt_u64_e32 vcc, s[0:1], v[18:19]
	v_cmp_le_u64_e64 s[0:1], s[0:1], v[18:19]
	s_addc_u32 s3, s19, s7
	v_sub_u32_e32 v3, v3, v4
                                        ; implicit-def: $vgpr20
                                        ; implicit-def: $vgpr22
	s_and_saveexec_b64 s[4:5], s[0:1]
	s_xor_b64 s[0:1], exec, s[4:5]
; %bb.9:
	s_mov_b32 s4, 0x1999999a
	v_mul_hi_u32 v1, v0, s4
	v_mul_u32_u24_e32 v1, 10, v1
	v_sub_u32_e32 v20, v0, v1
	v_add_u32_e32 v22, 10, v20
                                        ; implicit-def: $vgpr0
                                        ; implicit-def: $vgpr1_vgpr2
; %bb.10:
	s_or_saveexec_b64 s[4:5], s[0:1]
	v_mul_u32_u24_e32 v3, 0x51, v3
	v_lshlrev_b32_e32 v28, 3, v3
	s_xor_b64 exec, exec, s[4:5]
	s_cbranch_execz .LBB0_12
; %bb.11:
	s_add_u32 s0, s16, s6
	s_addc_u32 s1, s17, s7
	s_load_dwordx2 s[0:1], s[0:1], 0x0
	s_mov_b32 s6, 0x1999999a
	v_mul_hi_u32 v5, v0, s6
	s_waitcnt lgkmcnt(0)
	v_mul_lo_u32 v6, s1, v18
	v_mul_lo_u32 v7, s0, v19
	v_mad_u64_u32 v[3:4], s[0:1], s0, v18, 0
	v_mul_u32_u24_e32 v5, 10, v5
	v_sub_u32_e32 v20, v0, v5
	v_add3_u32 v4, v4, v7, v6
	v_lshlrev_b64 v[3:4], 3, v[3:4]
	v_mov_b32_e32 v0, s9
	v_add_co_u32_e64 v3, s[0:1], s8, v3
	v_addc_co_u32_e64 v4, s[0:1], v0, v4, s[0:1]
	v_lshlrev_b64 v[0:1], 3, v[1:2]
	v_lshlrev_b32_e32 v21, 3, v20
	v_add_co_u32_e64 v0, s[0:1], v3, v0
	v_addc_co_u32_e64 v1, s[0:1], v4, v1, s[0:1]
	v_add_co_u32_e64 v0, s[0:1], v0, v21
	v_addc_co_u32_e64 v1, s[0:1], 0, v1, s[0:1]
	global_load_dwordx2 v[2:3], v[0:1], off
	global_load_dwordx2 v[4:5], v[0:1], off offset:80
	global_load_dwordx2 v[6:7], v[0:1], off offset:160
	;; [unrolled: 1-line block ×7, first 2 shown]
	v_add_u32_e32 v22, 10, v20
	v_add3_u32 v0, 0, v28, v21
	s_waitcnt vmcnt(6)
	ds_write2_b64 v0, v[2:3], v[4:5] offset1:10
	s_waitcnt vmcnt(4)
	ds_write2_b64 v0, v[6:7], v[8:9] offset0:20 offset1:30
	s_waitcnt vmcnt(2)
	ds_write2_b64 v0, v[10:11], v[12:13] offset0:40 offset1:50
	;; [unrolled: 2-line block ×3, first 2 shown]
.LBB0_12:
	s_or_b64 exec, exec, s[4:5]
	v_lshlrev_b32_e32 v21, 3, v20
	v_add3_u32 v27, 0, v21, v28
	v_add_u32_e32 v25, 0, v28
	s_load_dwordx2 s[2:3], s[2:3], 0x0
	s_waitcnt lgkmcnt(0)
	; wave barrier
	s_waitcnt lgkmcnt(0)
	ds_read2_b64 v[0:3], v27 offset0:10 offset1:16
	ds_read2_b64 v[4:7], v27 offset0:26 offset1:32
	ds_read2_b64 v[8:11], v27 offset0:42 offset1:48
	ds_read2_b64 v[12:15], v27 offset0:58 offset1:64
	v_add_u32_e32 v26, v25, v21
	ds_read_b64 v[29:30], v26
	s_waitcnt lgkmcnt(3)
	v_sub_f32_e32 v23, v2, v6
	s_waitcnt lgkmcnt(2)
	v_add_f32_e32 v33, v6, v10
	s_waitcnt lgkmcnt(1)
	v_sub_f32_e32 v24, v14, v10
	v_add_f32_e32 v34, v7, v11
	v_add_f32_e32 v37, v23, v24
	ds_read_b64 v[23:24], v27 offset:592
	s_waitcnt lgkmcnt(1)
	v_fma_f32 v33, -0.5, v33, v29
	v_fma_f32 v34, -0.5, v34, v30
	v_sub_f32_e32 v35, v3, v7
	v_sub_f32_e32 v36, v15, v11
	v_add_f32_e32 v31, v29, v2
	v_add_f32_e32 v32, v30, v3
	;; [unrolled: 1-line block ×3, first 2 shown]
	v_sub_f32_e32 v39, v3, v15
	v_mov_b32_e32 v35, v33
	v_mov_b32_e32 v36, v34
	v_sub_f32_e32 v41, v2, v14
	v_add_f32_e32 v31, v31, v6
	v_add_f32_e32 v32, v32, v7
	v_fmac_f32_e32 v35, 0x3f737871, v39
	v_sub_f32_e32 v40, v7, v11
	v_fmac_f32_e32 v36, 0xbf737871, v41
	v_sub_f32_e32 v42, v6, v10
	v_add_f32_e32 v31, v31, v10
	v_add_f32_e32 v32, v32, v11
	v_fmac_f32_e32 v35, 0x3f167918, v40
	v_fmac_f32_e32 v36, 0xbf167918, v42
	v_add_f32_e32 v31, v31, v14
	v_add_f32_e32 v32, v32, v15
	v_fmac_f32_e32 v35, 0x3e9e377a, v37
	v_fmac_f32_e32 v36, 0x3e9e377a, v38
	v_lshl_add_u32 v43, v20, 5, v27
	s_waitcnt lgkmcnt(0)
	; wave barrier
	s_waitcnt lgkmcnt(0)
	ds_write2_b64 v43, v[31:32], v[35:36] offset1:1
	v_add_f32_e32 v31, v2, v14
	v_fma_f32 v29, -0.5, v31, v29
	v_sub_f32_e32 v2, v6, v2
	v_sub_f32_e32 v6, v10, v14
	v_add_f32_e32 v6, v2, v6
	v_mov_b32_e32 v2, v29
	v_fmac_f32_e32 v2, 0xbf737871, v40
	v_fmac_f32_e32 v29, 0x3f737871, v40
	;; [unrolled: 1-line block ×6, first 2 shown]
	v_add_f32_e32 v6, v3, v15
	v_fmac_f32_e32 v30, -0.5, v6
	v_sub_f32_e32 v3, v7, v3
	v_sub_f32_e32 v6, v11, v15
	v_add_f32_e32 v6, v3, v6
	v_mov_b32_e32 v3, v30
	v_fmac_f32_e32 v3, 0x3f737871, v42
	v_fmac_f32_e32 v30, 0xbf737871, v42
	;; [unrolled: 1-line block ×12, first 2 shown]
	v_cmp_gt_u32_e64 s[0:1], 6, v20
	ds_write2_b64 v43, v[2:3], v[29:30] offset0:2 offset1:3
	ds_write_b64 v43, v[33:34] offset:32
	s_and_saveexec_b64 s[4:5], s[0:1]
	s_cbranch_execz .LBB0_14
; %bb.13:
	v_add_f32_e32 v10, v1, v5
	v_sub_f32_e32 v2, v5, v9
	v_sub_f32_e32 v3, v24, v13
	v_add_f32_e32 v10, v10, v9
	v_add_f32_e32 v14, v2, v3
	;; [unrolled: 1-line block ×3, first 2 shown]
	v_sub_f32_e32 v31, v5, v24
	v_sub_f32_e32 v32, v9, v13
	v_add_f32_e32 v10, v10, v13
	v_sub_f32_e32 v9, v9, v5
	v_add_f32_e32 v5, v5, v24
	v_fma_f32 v3, -0.5, v2, v1
	v_sub_f32_e32 v2, v4, v8
	v_sub_f32_e32 v6, v23, v12
	v_add_f32_e32 v11, v10, v24
	v_add_f32_e32 v10, v0, v4
	v_fma_f32 v1, -0.5, v5, v1
	v_sub_f32_e32 v15, v4, v23
	v_sub_f32_e32 v29, v8, v12
	v_add_f32_e32 v30, v2, v6
	v_add_f32_e32 v2, v8, v12
	v_add_f32_e32 v10, v10, v8
	v_mov_b32_e32 v5, v1
	v_sub_f32_e32 v8, v8, v4
	v_add_f32_e32 v4, v4, v23
	v_fma_f32 v2, -0.5, v2, v0
	v_sub_f32_e32 v13, v13, v24
	v_fmac_f32_e32 v5, 0xbf737871, v29
	v_fmac_f32_e32 v1, 0x3f737871, v29
	v_fma_f32 v0, -0.5, v4, v0
	v_add_f32_e32 v9, v9, v13
	v_fmac_f32_e32 v5, 0x3f167918, v15
	v_fmac_f32_e32 v1, 0xbf167918, v15
	v_mov_b32_e32 v4, v0
	v_mov_b32_e32 v7, v3
	v_mov_b32_e32 v6, v2
	v_fmac_f32_e32 v5, 0x3e9e377a, v9
	v_fmac_f32_e32 v1, 0x3e9e377a, v9
	v_sub_f32_e32 v9, v12, v23
	v_fmac_f32_e32 v4, 0x3f737871, v32
	v_fmac_f32_e32 v0, 0xbf737871, v32
	;; [unrolled: 1-line block ×4, first 2 shown]
	v_add_f32_e32 v8, v8, v9
	v_fmac_f32_e32 v4, 0xbf167918, v31
	v_fmac_f32_e32 v0, 0x3f167918, v31
	;; [unrolled: 1-line block ×4, first 2 shown]
	v_add_f32_e32 v10, v10, v12
	v_fmac_f32_e32 v3, 0x3f737871, v15
	v_fmac_f32_e32 v4, 0x3e9e377a, v8
	;; [unrolled: 1-line block ×4, first 2 shown]
	v_mul_i32_i24_e32 v8, 40, v22
	v_fmac_f32_e32 v7, 0x3e9e377a, v14
	v_fmac_f32_e32 v6, 0x3e9e377a, v30
	v_add_f32_e32 v10, v10, v23
	v_fmac_f32_e32 v3, 0x3f167918, v29
	v_fmac_f32_e32 v2, 0xbf167918, v32
	v_add3_u32 v8, 0, v8, v28
	v_fmac_f32_e32 v3, 0x3e9e377a, v14
	v_fmac_f32_e32 v2, 0x3e9e377a, v30
	ds_write2_b64 v8, v[10:11], v[6:7] offset1:1
	ds_write2_b64 v8, v[0:1], v[4:5] offset0:2 offset1:3
	ds_write_b64 v8, v[2:3] offset:32
.LBB0_14:
	s_or_b64 exec, exec, s[4:5]
	v_add_u32_e32 v0, -5, v20
	v_cmp_gt_u32_e64 s[0:1], 5, v20
	v_cndmask_b32_e64 v0, v0, v20, s[0:1]
	v_mov_b32_e32 v1, 0
	v_lshlrev_b64 v[2:3], 3, v[0:1]
	v_mov_b32_e32 v4, s13
	v_add_co_u32_e64 v2, s[0:1], s12, v2
	v_addc_co_u32_e64 v3, s[0:1], v4, v3, s[0:1]
	s_movk_i32 s0, 0xcd
	v_mul_lo_u16_sdwa v4, v22, s0 dst_sel:DWORD dst_unused:UNUSED_PAD src0_sel:BYTE_0 src1_sel:DWORD
	v_lshrrev_b16_e32 v37, 10, v4
	v_mul_lo_u16_e32 v4, 5, v37
	v_sub_u16_e32 v4, v22, v4
	v_mov_b32_e32 v5, 3
	s_waitcnt lgkmcnt(0)
	; wave barrier
	s_waitcnt lgkmcnt(0)
	v_lshlrev_b32_sdwa v38, v5, v4 dst_sel:DWORD dst_unused:UNUSED_PAD src0_sel:DWORD src1_sel:BYTE_0
	v_add_u16_e32 v4, 20, v20
	global_load_dwordx2 v[14:15], v[2:3], off
	v_add_u16_e32 v2, 30, v20
	v_mul_lo_u16_sdwa v6, v4, s0 dst_sel:DWORD dst_unused:UNUSED_PAD src0_sel:BYTE_0 src1_sel:DWORD
	v_mul_lo_u16_sdwa v3, v2, s0 dst_sel:DWORD dst_unused:UNUSED_PAD src0_sel:BYTE_0 src1_sel:DWORD
	v_lshrrev_b16_e32 v39, 10, v6
	v_lshrrev_b16_e32 v41, 10, v3
	v_mul_lo_u16_e32 v6, 5, v39
	v_mul_lo_u16_e32 v3, 5, v41
	v_sub_u16_e32 v4, v4, v6
	v_sub_u16_e32 v2, v2, v3
	v_lshlrev_b32_sdwa v40, v5, v4 dst_sel:DWORD dst_unused:UNUSED_PAD src0_sel:DWORD src1_sel:BYTE_0
	global_load_dwordx2 v[23:24], v38, s[12:13]
	global_load_dwordx2 v[29:30], v40, s[12:13]
	v_lshlrev_b32_sdwa v42, v5, v2 dst_sel:DWORD dst_unused:UNUSED_PAD src0_sel:DWORD src1_sel:BYTE_0
	global_load_dwordx2 v[31:32], v42, s[12:13]
	ds_read2_b64 v[2:5], v27 offset0:40 offset1:50
	ds_read2_b64 v[6:9], v27 offset0:20 offset1:30
	;; [unrolled: 1-line block ×3, first 2 shown]
	v_lshlrev_b32_e32 v33, 3, v22
	s_movk_i32 s4, 0x50
	v_mov_b32_e32 v34, 0x50
	v_cmp_lt_u32_e64 s[0:1], 4, v20
	v_add3_u32 v43, 0, v33, v28
	v_cndmask_b32_e64 v44, 0, v34, s[0:1]
	ds_read_b64 v[33:34], v26
	ds_read_b64 v[35:36], v43
	v_mad_u32_u24 v37, v37, s4, 0
	v_mad_u32_u24 v39, v39, s4, 0
	v_add3_u32 v37, v37, v38, v28
	v_add3_u32 v38, v39, v40, v28
	v_add_u32_e32 v44, 0, v44
	v_lshlrev_b32_e32 v0, 3, v0
	v_add3_u32 v0, v44, v0, v28
	v_mad_u32_u24 v41, v41, s4, 0
	s_waitcnt lgkmcnt(0)
	; wave barrier
	s_waitcnt lgkmcnt(0)
	v_cmp_ne_u32_e64 s[0:1], 0, v20
	s_waitcnt vmcnt(3)
	v_mul_f32_e32 v39, v15, v3
	v_mul_f32_e32 v15, v15, v2
	v_fma_f32 v2, v14, v2, -v39
	v_fmac_f32_e32 v15, v14, v3
	v_sub_f32_e32 v2, v33, v2
	s_waitcnt vmcnt(2)
	v_mul_f32_e32 v3, v24, v5
	v_mul_f32_e32 v14, v24, v4
	s_waitcnt vmcnt(1)
	v_mul_f32_e32 v24, v30, v11
	v_fma_f32 v39, v23, v4, -v3
	v_fmac_f32_e32 v14, v23, v5
	v_mul_f32_e32 v23, v30, v10
	s_waitcnt vmcnt(0)
	v_mul_f32_e32 v3, v32, v13
	v_mul_f32_e32 v30, v32, v12
	v_fma_f32 v24, v29, v10, -v24
	v_fmac_f32_e32 v23, v29, v11
	v_fma_f32 v29, v31, v12, -v3
	v_fmac_f32_e32 v30, v31, v13
	v_sub_f32_e32 v3, v34, v15
	v_fma_f32 v4, v33, 2.0, -v2
	v_fma_f32 v5, v34, 2.0, -v3
	v_sub_f32_e32 v10, v35, v39
	v_sub_f32_e32 v11, v36, v14
	;; [unrolled: 1-line block ×6, first 2 shown]
	v_fma_f32 v23, v35, 2.0, -v10
	v_fma_f32 v24, v36, 2.0, -v11
	;; [unrolled: 1-line block ×6, first 2 shown]
	ds_write2_b64 v0, v[4:5], v[2:3] offset1:5
	ds_write2_b64 v37, v[23:24], v[10:11] offset1:5
	;; [unrolled: 1-line block ×3, first 2 shown]
	v_add3_u32 v0, v41, v42, v28
	ds_write2_b64 v0, v[8:9], v[14:15] offset1:5
	v_mul_u32_u24_e32 v0, 7, v20
	v_lshlrev_b32_e32 v0, 3, v0
	s_waitcnt lgkmcnt(0)
	; wave barrier
	s_waitcnt lgkmcnt(0)
	global_load_dwordx4 v[2:5], v0, s[12:13] offset:40
	global_load_dwordx4 v[6:9], v0, s[12:13] offset:56
	;; [unrolled: 1-line block ×3, first 2 shown]
	global_load_dwordx2 v[14:15], v0, s[12:13] offset:88
	ds_read_b64 v[23:24], v43
	ds_read_b64 v[40:41], v26
	ds_read2_b64 v[28:31], v27 offset0:20 offset1:30
	ds_read2_b64 v[32:35], v27 offset0:40 offset1:50
	;; [unrolled: 1-line block ×3, first 2 shown]
	s_waitcnt lgkmcnt(0)
	; wave barrier
	s_waitcnt vmcnt(3) lgkmcnt(0)
	v_mul_f32_e32 v0, v3, v24
	v_mul_f32_e32 v3, v3, v23
	;; [unrolled: 1-line block ×4, first 2 shown]
	v_fma_f32 v0, v2, v23, -v0
	v_fmac_f32_e32 v3, v2, v24
	s_waitcnt vmcnt(2)
	v_mul_f32_e32 v2, v7, v31
	v_mul_f32_e32 v7, v7, v30
	v_fma_f32 v23, v4, v28, -v42
	v_fmac_f32_e32 v5, v4, v29
	v_mul_f32_e32 v4, v9, v33
	v_mul_f32_e32 v9, v9, v32
	s_waitcnt vmcnt(1)
	v_mul_f32_e32 v24, v11, v35
	v_mul_f32_e32 v11, v11, v34
	v_fma_f32 v2, v6, v30, -v2
	v_fmac_f32_e32 v7, v6, v31
	v_mul_f32_e32 v6, v13, v37
	v_mul_f32_e32 v13, v13, v36
	s_waitcnt vmcnt(0)
	v_mul_f32_e32 v28, v39, v15
	v_mul_f32_e32 v15, v38, v15
	v_fma_f32 v4, v8, v32, -v4
	v_fmac_f32_e32 v9, v8, v33
	v_fmac_f32_e32 v11, v10, v35
	v_fma_f32 v6, v12, v36, -v6
	v_fmac_f32_e32 v13, v12, v37
	v_fmac_f32_e32 v15, v39, v14
	v_fma_f32 v8, v10, v34, -v24
	v_fma_f32 v10, v38, v14, -v28
	v_sub_f32_e32 v4, v40, v4
	v_sub_f32_e32 v9, v41, v9
	;; [unrolled: 1-line block ×8, first 2 shown]
	v_fma_f32 v14, v40, 2.0, -v4
	v_fma_f32 v15, v41, 2.0, -v9
	;; [unrolled: 1-line block ×6, first 2 shown]
	v_sub_f32_e32 v24, v4, v12
	v_add_f32_e32 v28, v9, v6
	v_fma_f32 v0, v0, 2.0, -v8
	v_fma_f32 v2, v2, 2.0, -v10
	v_sub_f32_e32 v29, v8, v13
	v_add_f32_e32 v30, v11, v10
	v_sub_f32_e32 v12, v14, v23
	v_sub_f32_e32 v13, v15, v5
	v_fma_f32 v5, v4, 2.0, -v24
	v_fma_f32 v23, v9, 2.0, -v28
	v_sub_f32_e32 v4, v3, v7
	v_sub_f32_e32 v31, v0, v2
	v_fma_f32 v10, v8, 2.0, -v29
	v_fma_f32 v11, v11, 2.0, -v30
	;; [unrolled: 1-line block ×3, first 2 shown]
	v_mov_b32_e32 v2, v5
	v_mov_b32_e32 v3, v23
	v_fma_f32 v8, v14, 2.0, -v12
	v_fma_f32 v9, v15, 2.0, -v13
	;; [unrolled: 1-line block ×3, first 2 shown]
	v_fmac_f32_e32 v2, 0xbf3504f3, v10
	v_fmac_f32_e32 v3, 0xbf3504f3, v11
	v_mov_b32_e32 v14, v24
	v_mov_b32_e32 v15, v28
	v_sub_f32_e32 v6, v8, v0
	v_sub_f32_e32 v7, v9, v7
	v_fmac_f32_e32 v2, 0xbf3504f3, v11
	v_fmac_f32_e32 v3, 0x3f3504f3, v10
	;; [unrolled: 1-line block ×4, first 2 shown]
	v_sub_f32_e32 v4, v12, v4
	v_fma_f32 v8, v8, 2.0, -v6
	v_fma_f32 v9, v9, 2.0, -v7
	;; [unrolled: 1-line block ×4, first 2 shown]
	v_add_f32_e32 v5, v13, v31
	v_fmac_f32_e32 v14, 0xbf3504f3, v30
	v_fmac_f32_e32 v15, 0x3f3504f3, v29
	v_fma_f32 v12, v12, 2.0, -v4
	v_fma_f32 v13, v13, 2.0, -v5
	;; [unrolled: 1-line block ×4, first 2 shown]
	ds_write2_b64 v27, v[8:9], v[10:11] offset1:10
	ds_write2_b64 v27, v[12:13], v[23:24] offset0:20 offset1:30
	ds_write2_b64 v27, v[6:7], v[2:3] offset0:40 offset1:50
	;; [unrolled: 1-line block ×3, first 2 shown]
	s_waitcnt lgkmcnt(0)
	; wave barrier
	s_waitcnt lgkmcnt(0)
	ds_read_b64 v[4:5], v26
	v_sub_u32_e32 v6, v25, v21
                                        ; implicit-def: $vgpr0
                                        ; implicit-def: $vgpr7
                                        ; implicit-def: $vgpr8
                                        ; implicit-def: $vgpr2_vgpr3
	s_and_saveexec_b64 s[4:5], s[0:1]
	s_xor_b64 s[4:5], exec, s[4:5]
	s_cbranch_execz .LBB0_16
; %bb.15:
	v_mov_b32_e32 v21, v1
	v_lshlrev_b64 v[0:1], 3, v[20:21]
	v_mov_b32_e32 v2, s13
	v_add_co_u32_e64 v0, s[0:1], s12, v0
	v_addc_co_u32_e64 v1, s[0:1], v2, v1, s[0:1]
	global_load_dwordx2 v[0:1], v[0:1], off offset:600
	ds_read_b64 v[2:3], v6 offset:640
	s_waitcnt lgkmcnt(0)
	v_add_f32_e32 v9, v2, v4
	v_sub_f32_e32 v2, v4, v2
	v_add_f32_e32 v7, v3, v5
	v_sub_f32_e32 v3, v5, v3
	v_mul_f32_e32 v2, 0.5, v2
	v_mul_f32_e32 v4, 0.5, v7
	;; [unrolled: 1-line block ×3, first 2 shown]
	s_waitcnt vmcnt(0)
	v_mul_f32_e32 v5, v1, v2
	v_fma_f32 v8, v4, v1, v3
	v_fma_f32 v1, v4, v1, -v3
	v_fma_f32 v7, 0.5, v9, v5
	v_fma_f32 v3, v9, 0.5, -v5
	v_fma_f32 v8, -v0, v2, v8
	v_fma_f32 v1, -v0, v2, v1
	v_fmac_f32_e32 v7, v0, v4
	v_fma_f32 v0, -v0, v4, v3
	v_mov_b32_e32 v2, v20
	v_mov_b32_e32 v3, v21
                                        ; implicit-def: $vgpr4_vgpr5
.LBB0_16:
	s_andn2_saveexec_b64 s[0:1], s[4:5]
	s_cbranch_execz .LBB0_18
; %bb.17:
	ds_read_b32 v1, v25 offset:324
	v_mov_b32_e32 v2, 0
	s_waitcnt lgkmcnt(1)
	v_add_f32_e32 v7, v4, v5
	v_sub_f32_e32 v0, v4, v5
	v_mov_b32_e32 v3, 0
	s_waitcnt lgkmcnt(0)
	v_xor_b32_e32 v1, 0x80000000, v1
	v_mov_b32_e32 v8, 0
	ds_write_b32 v25, v1 offset:324
	v_mov_b32_e32 v1, 0
.LBB0_18:
	s_or_b64 exec, exec, s[0:1]
	v_mov_b32_e32 v23, 0
	s_waitcnt lgkmcnt(0)
	v_lshlrev_b64 v[4:5], 3, v[22:23]
	v_mov_b32_e32 v9, s13
	v_add_co_u32_e64 v4, s[0:1], s12, v4
	v_addc_co_u32_e64 v5, s[0:1], v9, v5, s[0:1]
	global_load_dwordx2 v[4:5], v[4:5], off offset:600
	s_add_u32 s0, s12, 0x258
	v_lshlrev_b64 v[2:3], 3, v[2:3]
	s_addc_u32 s1, s13, 0
	v_mov_b32_e32 v9, s1
	v_add_co_u32_e64 v2, s[0:1], s0, v2
	v_addc_co_u32_e64 v3, s[0:1], v9, v3, s[0:1]
	global_load_dwordx2 v[9:10], v[2:3], off offset:160
	global_load_dwordx2 v[11:12], v[2:3], off offset:240
	ds_write2_b32 v26, v7, v8 offset1:1
	ds_write_b64 v6, v[0:1] offset:640
	v_lshl_add_u32 v7, v22, 3, v25
	ds_read_b64 v[0:1], v7
	ds_read_b64 v[2:3], v6 offset:560
	s_waitcnt lgkmcnt(0)
	v_add_f32_e32 v8, v0, v2
	v_sub_f32_e32 v0, v0, v2
	v_add_f32_e32 v13, v1, v3
	v_sub_f32_e32 v1, v1, v3
	v_mul_f32_e32 v0, 0.5, v0
	v_mul_f32_e32 v2, 0.5, v13
	;; [unrolled: 1-line block ×3, first 2 shown]
	s_waitcnt vmcnt(2)
	v_mul_f32_e32 v3, v5, v0
	v_fma_f32 v13, v2, v5, v1
	v_fma_f32 v1, v2, v5, -v1
	v_fma_f32 v5, 0.5, v8, v3
	v_fma_f32 v13, -v4, v0, v13
	v_fma_f32 v3, v8, 0.5, -v3
	v_fmac_f32_e32 v5, v4, v2
	v_fma_f32 v1, -v4, v0, v1
	v_fma_f32 v0, -v4, v2, v3
	ds_write2_b32 v7, v5, v13 offset1:1
	ds_write_b64 v6, v[0:1] offset:560
	ds_read_b64 v[0:1], v26 offset:160
	ds_read_b64 v[2:3], v6 offset:480
	s_waitcnt lgkmcnt(0)
	v_add_f32_e32 v4, v0, v2
	v_sub_f32_e32 v0, v0, v2
	v_add_f32_e32 v5, v1, v3
	v_sub_f32_e32 v1, v1, v3
	v_mul_f32_e32 v0, 0.5, v0
	v_mul_f32_e32 v2, 0.5, v5
	v_mul_f32_e32 v1, 0.5, v1
	s_waitcnt vmcnt(1)
	v_mul_f32_e32 v3, v10, v0
	v_fma_f32 v5, v2, v10, v1
	v_fma_f32 v7, 0.5, v4, v3
	v_fma_f32 v1, v2, v10, -v1
	v_fma_f32 v5, -v9, v0, v5
	v_fma_f32 v3, v4, 0.5, -v3
	v_fmac_f32_e32 v7, v9, v2
	v_fma_f32 v1, -v9, v0, v1
	v_fma_f32 v0, -v9, v2, v3
	ds_write2_b32 v26, v7, v5 offset0:40 offset1:41
	ds_write_b64 v6, v[0:1] offset:480
	ds_read_b64 v[0:1], v26 offset:240
	ds_read_b64 v[2:3], v6 offset:400
	s_waitcnt lgkmcnt(0)
	v_add_f32_e32 v4, v0, v2
	v_sub_f32_e32 v0, v0, v2
	v_add_f32_e32 v5, v1, v3
	v_sub_f32_e32 v1, v1, v3
	v_mul_f32_e32 v0, 0.5, v0
	v_mul_f32_e32 v2, 0.5, v5
	;; [unrolled: 1-line block ×3, first 2 shown]
	s_waitcnt vmcnt(0)
	v_mul_f32_e32 v3, v12, v0
	v_fma_f32 v5, v2, v12, v1
	v_fma_f32 v7, 0.5, v4, v3
	v_fma_f32 v1, v2, v12, -v1
	v_fma_f32 v5, -v11, v0, v5
	v_fma_f32 v3, v4, 0.5, -v3
	v_fmac_f32_e32 v7, v11, v2
	v_fma_f32 v1, -v11, v0, v1
	v_fma_f32 v0, -v11, v2, v3
	ds_write2_b32 v26, v7, v5 offset0:60 offset1:61
	ds_write_b64 v6, v[0:1] offset:400
	s_waitcnt lgkmcnt(0)
	; wave barrier
	s_waitcnt lgkmcnt(0)
	s_and_saveexec_b64 s[0:1], vcc
	s_cbranch_execz .LBB0_21
; %bb.19:
	v_mul_lo_u32 v2, s3, v18
	v_mul_lo_u32 v3, s2, v19
	v_mad_u64_u32 v[0:1], s[0:1], s2, v18, 0
	v_mov_b32_e32 v7, s11
	v_mov_b32_e32 v21, v23
	v_add3_u32 v1, v1, v3, v2
	v_lshlrev_b64 v[0:1], 3, v[0:1]
	v_lshl_add_u32 v2, v20, 3, v25
	v_add_co_u32_e32 v8, vcc, s10, v0
	v_addc_co_u32_e32 v7, vcc, v7, v1, vcc
	v_lshlrev_b64 v[0:1], 3, v[16:17]
	ds_read2_b64 v[3:6], v2 offset1:10
	v_add_co_u32_e32 v0, vcc, v8, v0
	v_addc_co_u32_e32 v1, vcc, v7, v1, vcc
	v_lshlrev_b64 v[7:8], 3, v[20:21]
	v_add_u32_e32 v22, 10, v20
	v_add_co_u32_e32 v7, vcc, v0, v7
	v_addc_co_u32_e32 v8, vcc, v1, v8, vcc
	s_waitcnt lgkmcnt(0)
	global_store_dwordx2 v[7:8], v[3:4], off
	v_lshlrev_b64 v[3:4], 3, v[22:23]
	v_add_u32_e32 v22, 20, v20
	v_add_co_u32_e32 v3, vcc, v0, v3
	v_addc_co_u32_e32 v4, vcc, v1, v4, vcc
	global_store_dwordx2 v[3:4], v[5:6], off
	ds_read2_b64 v[3:6], v2 offset0:20 offset1:30
	v_lshlrev_b64 v[7:8], 3, v[22:23]
	v_add_u32_e32 v22, 30, v20
	v_add_co_u32_e32 v7, vcc, v0, v7
	v_addc_co_u32_e32 v8, vcc, v1, v8, vcc
	s_waitcnt lgkmcnt(0)
	global_store_dwordx2 v[7:8], v[3:4], off
	v_lshlrev_b64 v[3:4], 3, v[22:23]
	v_add_u32_e32 v22, 40, v20
	v_add_co_u32_e32 v3, vcc, v0, v3
	v_addc_co_u32_e32 v4, vcc, v1, v4, vcc
	global_store_dwordx2 v[3:4], v[5:6], off
	ds_read2_b64 v[3:6], v2 offset0:40 offset1:50
	;; [unrolled: 12-line block ×3, first 2 shown]
	v_lshlrev_b64 v[7:8], 3, v[22:23]
	v_add_u32_e32 v22, 0x46, v20
	v_add_co_u32_e32 v7, vcc, v0, v7
	v_addc_co_u32_e32 v8, vcc, v1, v8, vcc
	s_waitcnt lgkmcnt(0)
	global_store_dwordx2 v[7:8], v[3:4], off
	v_lshlrev_b64 v[3:4], 3, v[22:23]
	v_add_co_u32_e32 v3, vcc, v0, v3
	v_addc_co_u32_e32 v4, vcc, v1, v4, vcc
	v_cmp_eq_u32_e32 vcc, 9, v20
	global_store_dwordx2 v[3:4], v[5:6], off
	s_and_b64 exec, exec, vcc
	s_cbranch_execz .LBB0_21
; %bb.20:
	ds_read_b64 v[2:3], v2 offset:568
	s_waitcnt lgkmcnt(0)
	global_store_dwordx2 v[0:1], v[2:3], off offset:640
.LBB0_21:
	s_endpgm
	.section	.rodata,"a",@progbits
	.p2align	6, 0x0
	.amdhsa_kernel fft_rtc_fwd_len80_factors_5_2_8_wgs_60_tpt_10_halfLds_sp_op_CI_CI_unitstride_sbrr_R2C_dirReg
		.amdhsa_group_segment_fixed_size 0
		.amdhsa_private_segment_fixed_size 0
		.amdhsa_kernarg_size 104
		.amdhsa_user_sgpr_count 6
		.amdhsa_user_sgpr_private_segment_buffer 1
		.amdhsa_user_sgpr_dispatch_ptr 0
		.amdhsa_user_sgpr_queue_ptr 0
		.amdhsa_user_sgpr_kernarg_segment_ptr 1
		.amdhsa_user_sgpr_dispatch_id 0
		.amdhsa_user_sgpr_flat_scratch_init 0
		.amdhsa_user_sgpr_private_segment_size 0
		.amdhsa_uses_dynamic_stack 0
		.amdhsa_system_sgpr_private_segment_wavefront_offset 0
		.amdhsa_system_sgpr_workgroup_id_x 1
		.amdhsa_system_sgpr_workgroup_id_y 0
		.amdhsa_system_sgpr_workgroup_id_z 0
		.amdhsa_system_sgpr_workgroup_info 0
		.amdhsa_system_vgpr_workitem_id 0
		.amdhsa_next_free_vgpr 45
		.amdhsa_next_free_sgpr 28
		.amdhsa_reserve_vcc 1
		.amdhsa_reserve_flat_scratch 0
		.amdhsa_float_round_mode_32 0
		.amdhsa_float_round_mode_16_64 0
		.amdhsa_float_denorm_mode_32 3
		.amdhsa_float_denorm_mode_16_64 3
		.amdhsa_dx10_clamp 1
		.amdhsa_ieee_mode 1
		.amdhsa_fp16_overflow 0
		.amdhsa_exception_fp_ieee_invalid_op 0
		.amdhsa_exception_fp_denorm_src 0
		.amdhsa_exception_fp_ieee_div_zero 0
		.amdhsa_exception_fp_ieee_overflow 0
		.amdhsa_exception_fp_ieee_underflow 0
		.amdhsa_exception_fp_ieee_inexact 0
		.amdhsa_exception_int_div_zero 0
	.end_amdhsa_kernel
	.text
.Lfunc_end0:
	.size	fft_rtc_fwd_len80_factors_5_2_8_wgs_60_tpt_10_halfLds_sp_op_CI_CI_unitstride_sbrr_R2C_dirReg, .Lfunc_end0-fft_rtc_fwd_len80_factors_5_2_8_wgs_60_tpt_10_halfLds_sp_op_CI_CI_unitstride_sbrr_R2C_dirReg
                                        ; -- End function
	.section	.AMDGPU.csdata,"",@progbits
; Kernel info:
; codeLenInByte = 4784
; NumSgprs: 32
; NumVgprs: 45
; ScratchSize: 0
; MemoryBound: 0
; FloatMode: 240
; IeeeMode: 1
; LDSByteSize: 0 bytes/workgroup (compile time only)
; SGPRBlocks: 3
; VGPRBlocks: 11
; NumSGPRsForWavesPerEU: 32
; NumVGPRsForWavesPerEU: 45
; Occupancy: 5
; WaveLimiterHint : 1
; COMPUTE_PGM_RSRC2:SCRATCH_EN: 0
; COMPUTE_PGM_RSRC2:USER_SGPR: 6
; COMPUTE_PGM_RSRC2:TRAP_HANDLER: 0
; COMPUTE_PGM_RSRC2:TGID_X_EN: 1
; COMPUTE_PGM_RSRC2:TGID_Y_EN: 0
; COMPUTE_PGM_RSRC2:TGID_Z_EN: 0
; COMPUTE_PGM_RSRC2:TIDIG_COMP_CNT: 0
	.type	__hip_cuid_d54e547f8f7dd7d3,@object ; @__hip_cuid_d54e547f8f7dd7d3
	.section	.bss,"aw",@nobits
	.globl	__hip_cuid_d54e547f8f7dd7d3
__hip_cuid_d54e547f8f7dd7d3:
	.byte	0                               ; 0x0
	.size	__hip_cuid_d54e547f8f7dd7d3, 1

	.ident	"AMD clang version 19.0.0git (https://github.com/RadeonOpenCompute/llvm-project roc-6.4.0 25133 c7fe45cf4b819c5991fe208aaa96edf142730f1d)"
	.section	".note.GNU-stack","",@progbits
	.addrsig
	.addrsig_sym __hip_cuid_d54e547f8f7dd7d3
	.amdgpu_metadata
---
amdhsa.kernels:
  - .args:
      - .actual_access:  read_only
        .address_space:  global
        .offset:         0
        .size:           8
        .value_kind:     global_buffer
      - .offset:         8
        .size:           8
        .value_kind:     by_value
      - .actual_access:  read_only
        .address_space:  global
        .offset:         16
        .size:           8
        .value_kind:     global_buffer
      - .actual_access:  read_only
        .address_space:  global
        .offset:         24
        .size:           8
        .value_kind:     global_buffer
      - .actual_access:  read_only
        .address_space:  global
        .offset:         32
        .size:           8
        .value_kind:     global_buffer
      - .offset:         40
        .size:           8
        .value_kind:     by_value
      - .actual_access:  read_only
        .address_space:  global
        .offset:         48
        .size:           8
        .value_kind:     global_buffer
      - .actual_access:  read_only
        .address_space:  global
        .offset:         56
        .size:           8
        .value_kind:     global_buffer
      - .offset:         64
        .size:           4
        .value_kind:     by_value
      - .actual_access:  read_only
        .address_space:  global
        .offset:         72
        .size:           8
        .value_kind:     global_buffer
      - .actual_access:  read_only
        .address_space:  global
        .offset:         80
        .size:           8
        .value_kind:     global_buffer
      - .actual_access:  read_only
        .address_space:  global
        .offset:         88
        .size:           8
        .value_kind:     global_buffer
      - .actual_access:  write_only
        .address_space:  global
        .offset:         96
        .size:           8
        .value_kind:     global_buffer
    .group_segment_fixed_size: 0
    .kernarg_segment_align: 8
    .kernarg_segment_size: 104
    .language:       OpenCL C
    .language_version:
      - 2
      - 0
    .max_flat_workgroup_size: 60
    .name:           fft_rtc_fwd_len80_factors_5_2_8_wgs_60_tpt_10_halfLds_sp_op_CI_CI_unitstride_sbrr_R2C_dirReg
    .private_segment_fixed_size: 0
    .sgpr_count:     32
    .sgpr_spill_count: 0
    .symbol:         fft_rtc_fwd_len80_factors_5_2_8_wgs_60_tpt_10_halfLds_sp_op_CI_CI_unitstride_sbrr_R2C_dirReg.kd
    .uniform_work_group_size: 1
    .uses_dynamic_stack: false
    .vgpr_count:     45
    .vgpr_spill_count: 0
    .wavefront_size: 64
amdhsa.target:   amdgcn-amd-amdhsa--gfx906
amdhsa.version:
  - 1
  - 2
...

	.end_amdgpu_metadata
